;; amdgpu-corpus repo=ROCm/rocFFT kind=compiled arch=gfx906 opt=O3
	.text
	.amdgcn_target "amdgcn-amd-amdhsa--gfx906"
	.amdhsa_code_object_version 6
	.protected	fft_rtc_fwd_len102_factors_17_6_wgs_119_tpt_17_halfLds_half_ip_CI_unitstride_sbrr_C2R_dirReg ; -- Begin function fft_rtc_fwd_len102_factors_17_6_wgs_119_tpt_17_halfLds_half_ip_CI_unitstride_sbrr_C2R_dirReg
	.globl	fft_rtc_fwd_len102_factors_17_6_wgs_119_tpt_17_halfLds_half_ip_CI_unitstride_sbrr_C2R_dirReg
	.p2align	8
	.type	fft_rtc_fwd_len102_factors_17_6_wgs_119_tpt_17_halfLds_half_ip_CI_unitstride_sbrr_C2R_dirReg,@function
fft_rtc_fwd_len102_factors_17_6_wgs_119_tpt_17_halfLds_half_ip_CI_unitstride_sbrr_C2R_dirReg: ; @fft_rtc_fwd_len102_factors_17_6_wgs_119_tpt_17_halfLds_half_ip_CI_unitstride_sbrr_C2R_dirReg
; %bb.0:
	s_load_dwordx2 s[2:3], s[4:5], 0x50
	s_load_dwordx4 s[8:11], s[4:5], 0x0
	s_load_dwordx2 s[12:13], s[4:5], 0x18
	v_mul_u32_u24_e32 v1, 0xf10, v0
	v_lshrrev_b32_e32 v1, 16, v1
	v_mad_u64_u32 v[1:2], s[0:1], s6, 7, v[1:2]
	v_mov_b32_e32 v5, 0
	s_waitcnt lgkmcnt(0)
	v_cmp_lt_u64_e64 s[0:1], s[10:11], 2
	v_mov_b32_e32 v2, v5
	v_mov_b32_e32 v3, 0
	;; [unrolled: 1-line block ×3, first 2 shown]
	s_and_b64 vcc, exec, s[0:1]
	v_mov_b32_e32 v4, 0
	v_mov_b32_e32 v9, v1
	s_cbranch_vccnz .LBB0_8
; %bb.1:
	s_load_dwordx2 s[0:1], s[4:5], 0x10
	s_add_u32 s6, s12, 8
	s_addc_u32 s7, s13, 0
	v_mov_b32_e32 v3, 0
	v_mov_b32_e32 v8, v2
	s_waitcnt lgkmcnt(0)
	s_add_u32 s16, s0, 8
	s_mov_b64 s[14:15], 1
	v_mov_b32_e32 v4, 0
	s_addc_u32 s17, s1, 0
	v_mov_b32_e32 v7, v1
.LBB0_2:                                ; =>This Inner Loop Header: Depth=1
	s_load_dwordx2 s[18:19], s[16:17], 0x0
                                        ; implicit-def: $vgpr9_vgpr10
	s_waitcnt lgkmcnt(0)
	v_or_b32_e32 v6, s19, v8
	v_cmp_ne_u64_e32 vcc, 0, v[5:6]
	s_and_saveexec_b64 s[0:1], vcc
	s_xor_b64 s[20:21], exec, s[0:1]
	s_cbranch_execz .LBB0_4
; %bb.3:                                ;   in Loop: Header=BB0_2 Depth=1
	v_cvt_f32_u32_e32 v2, s18
	v_cvt_f32_u32_e32 v6, s19
	s_sub_u32 s0, 0, s18
	s_subb_u32 s1, 0, s19
	v_mac_f32_e32 v2, 0x4f800000, v6
	v_rcp_f32_e32 v2, v2
	v_mul_f32_e32 v2, 0x5f7ffffc, v2
	v_mul_f32_e32 v6, 0x2f800000, v2
	v_trunc_f32_e32 v6, v6
	v_mac_f32_e32 v2, 0xcf800000, v6
	v_cvt_u32_f32_e32 v6, v6
	v_cvt_u32_f32_e32 v2, v2
	v_mul_lo_u32 v9, s0, v6
	v_mul_hi_u32 v10, s0, v2
	v_mul_lo_u32 v12, s1, v2
	v_mul_lo_u32 v11, s0, v2
	v_add_u32_e32 v9, v10, v9
	v_add_u32_e32 v9, v9, v12
	v_mul_hi_u32 v10, v2, v11
	v_mul_lo_u32 v12, v2, v9
	v_mul_hi_u32 v14, v2, v9
	v_mul_hi_u32 v13, v6, v11
	v_mul_lo_u32 v11, v6, v11
	v_mul_hi_u32 v15, v6, v9
	v_add_co_u32_e32 v10, vcc, v10, v12
	v_addc_co_u32_e32 v12, vcc, 0, v14, vcc
	v_mul_lo_u32 v9, v6, v9
	v_add_co_u32_e32 v10, vcc, v10, v11
	v_addc_co_u32_e32 v10, vcc, v12, v13, vcc
	v_addc_co_u32_e32 v11, vcc, 0, v15, vcc
	v_add_co_u32_e32 v9, vcc, v10, v9
	v_addc_co_u32_e32 v10, vcc, 0, v11, vcc
	v_add_co_u32_e32 v2, vcc, v2, v9
	v_addc_co_u32_e32 v6, vcc, v6, v10, vcc
	v_mul_lo_u32 v9, s0, v6
	v_mul_hi_u32 v10, s0, v2
	v_mul_lo_u32 v11, s1, v2
	v_mul_lo_u32 v12, s0, v2
	v_add_u32_e32 v9, v10, v9
	v_add_u32_e32 v9, v9, v11
	v_mul_lo_u32 v13, v2, v9
	v_mul_hi_u32 v14, v2, v12
	v_mul_hi_u32 v15, v2, v9
	;; [unrolled: 1-line block ×3, first 2 shown]
	v_mul_lo_u32 v12, v6, v12
	v_mul_hi_u32 v10, v6, v9
	v_add_co_u32_e32 v13, vcc, v14, v13
	v_addc_co_u32_e32 v14, vcc, 0, v15, vcc
	v_mul_lo_u32 v9, v6, v9
	v_add_co_u32_e32 v12, vcc, v13, v12
	v_addc_co_u32_e32 v11, vcc, v14, v11, vcc
	v_addc_co_u32_e32 v10, vcc, 0, v10, vcc
	v_add_co_u32_e32 v9, vcc, v11, v9
	v_addc_co_u32_e32 v10, vcc, 0, v10, vcc
	v_add_co_u32_e32 v2, vcc, v2, v9
	v_addc_co_u32_e32 v6, vcc, v6, v10, vcc
	v_mad_u64_u32 v[9:10], s[0:1], v7, v6, 0
	v_mul_hi_u32 v11, v7, v2
	v_add_co_u32_e32 v13, vcc, v11, v9
	v_addc_co_u32_e32 v14, vcc, 0, v10, vcc
	v_mad_u64_u32 v[9:10], s[0:1], v8, v2, 0
	v_mad_u64_u32 v[11:12], s[0:1], v8, v6, 0
	v_add_co_u32_e32 v2, vcc, v13, v9
	v_addc_co_u32_e32 v2, vcc, v14, v10, vcc
	v_addc_co_u32_e32 v6, vcc, 0, v12, vcc
	v_add_co_u32_e32 v2, vcc, v2, v11
	v_addc_co_u32_e32 v6, vcc, 0, v6, vcc
	v_mul_lo_u32 v11, s19, v2
	v_mul_lo_u32 v12, s18, v6
	v_mad_u64_u32 v[9:10], s[0:1], s18, v2, 0
	v_add3_u32 v10, v10, v12, v11
	v_sub_u32_e32 v11, v8, v10
	v_mov_b32_e32 v12, s19
	v_sub_co_u32_e32 v9, vcc, v7, v9
	v_subb_co_u32_e64 v11, s[0:1], v11, v12, vcc
	v_subrev_co_u32_e64 v12, s[0:1], s18, v9
	v_subbrev_co_u32_e64 v11, s[0:1], 0, v11, s[0:1]
	v_cmp_le_u32_e64 s[0:1], s19, v11
	v_cndmask_b32_e64 v13, 0, -1, s[0:1]
	v_cmp_le_u32_e64 s[0:1], s18, v12
	v_cndmask_b32_e64 v12, 0, -1, s[0:1]
	v_cmp_eq_u32_e64 s[0:1], s19, v11
	v_cndmask_b32_e64 v11, v13, v12, s[0:1]
	v_add_co_u32_e64 v12, s[0:1], 2, v2
	v_addc_co_u32_e64 v13, s[0:1], 0, v6, s[0:1]
	v_add_co_u32_e64 v14, s[0:1], 1, v2
	v_addc_co_u32_e64 v15, s[0:1], 0, v6, s[0:1]
	v_subb_co_u32_e32 v10, vcc, v8, v10, vcc
	v_cmp_ne_u32_e64 s[0:1], 0, v11
	v_cmp_le_u32_e32 vcc, s19, v10
	v_cndmask_b32_e64 v11, v15, v13, s[0:1]
	v_cndmask_b32_e64 v13, 0, -1, vcc
	v_cmp_le_u32_e32 vcc, s18, v9
	v_cndmask_b32_e64 v9, 0, -1, vcc
	v_cmp_eq_u32_e32 vcc, s19, v10
	v_cndmask_b32_e32 v9, v13, v9, vcc
	v_cmp_ne_u32_e32 vcc, 0, v9
	v_cndmask_b32_e32 v10, v6, v11, vcc
	v_cndmask_b32_e64 v6, v14, v12, s[0:1]
	v_cndmask_b32_e32 v9, v2, v6, vcc
.LBB0_4:                                ;   in Loop: Header=BB0_2 Depth=1
	s_andn2_saveexec_b64 s[0:1], s[20:21]
	s_cbranch_execz .LBB0_6
; %bb.5:                                ;   in Loop: Header=BB0_2 Depth=1
	v_cvt_f32_u32_e32 v2, s18
	s_sub_i32 s20, 0, s18
	v_rcp_iflag_f32_e32 v2, v2
	v_mul_f32_e32 v2, 0x4f7ffffe, v2
	v_cvt_u32_f32_e32 v2, v2
	v_mul_lo_u32 v6, s20, v2
	v_mul_hi_u32 v6, v2, v6
	v_add_u32_e32 v2, v2, v6
	v_mul_hi_u32 v2, v7, v2
	v_mul_lo_u32 v6, v2, s18
	v_add_u32_e32 v9, 1, v2
	v_sub_u32_e32 v6, v7, v6
	v_subrev_u32_e32 v10, s18, v6
	v_cmp_le_u32_e32 vcc, s18, v6
	v_cndmask_b32_e32 v6, v6, v10, vcc
	v_cndmask_b32_e32 v2, v2, v9, vcc
	v_add_u32_e32 v9, 1, v2
	v_cmp_le_u32_e32 vcc, s18, v6
	v_cndmask_b32_e32 v9, v2, v9, vcc
	v_mov_b32_e32 v10, v5
.LBB0_6:                                ;   in Loop: Header=BB0_2 Depth=1
	s_or_b64 exec, exec, s[0:1]
	v_mul_lo_u32 v2, v10, s18
	v_mul_lo_u32 v6, v9, s19
	v_mad_u64_u32 v[11:12], s[0:1], v9, s18, 0
	s_load_dwordx2 s[0:1], s[6:7], 0x0
	s_add_u32 s14, s14, 1
	v_add3_u32 v2, v12, v6, v2
	v_sub_co_u32_e32 v6, vcc, v7, v11
	v_subb_co_u32_e32 v2, vcc, v8, v2, vcc
	s_waitcnt lgkmcnt(0)
	v_mul_lo_u32 v2, s0, v2
	v_mul_lo_u32 v7, s1, v6
	v_mad_u64_u32 v[3:4], s[0:1], s0, v6, v[3:4]
	s_addc_u32 s15, s15, 0
	s_add_u32 s6, s6, 8
	v_add3_u32 v4, v7, v4, v2
	v_mov_b32_e32 v6, s10
	v_mov_b32_e32 v7, s11
	s_addc_u32 s7, s7, 0
	v_cmp_ge_u64_e32 vcc, s[14:15], v[6:7]
	s_add_u32 s16, s16, 8
	s_addc_u32 s17, s17, 0
	s_cbranch_vccnz .LBB0_8
; %bb.7:                                ;   in Loop: Header=BB0_2 Depth=1
	v_mov_b32_e32 v7, v9
	v_mov_b32_e32 v8, v10
	s_branch .LBB0_2
.LBB0_8:
	s_lshl_b64 s[0:1], s[10:11], 3
	s_add_u32 s0, s12, s0
	s_addc_u32 s1, s13, s1
	s_load_dwordx2 s[6:7], s[0:1], 0x0
	s_load_dwordx2 s[10:11], s[4:5], 0x20
	s_mov_b32 s0, 0x24924925
	v_mul_hi_u32 v5, v1, s0
	s_waitcnt lgkmcnt(0)
	v_mad_u64_u32 v[2:3], s[0:1], s6, v9, v[3:4]
	v_sub_u32_e32 v4, v1, v5
	v_lshrrev_b32_e32 v4, 1, v4
	v_add_u32_e32 v4, v4, v5
	v_lshrrev_b32_e32 v4, 2, v4
	v_mul_lo_u32 v6, s6, v10
	v_mul_lo_u32 v7, s7, v9
	;; [unrolled: 1-line block ×3, first 2 shown]
	s_mov_b32 s0, 0xf0f0f10
	v_mul_hi_u32 v5, v0, s0
	v_add3_u32 v3, v7, v3, v6
	v_sub_u32_e32 v1, v1, v4
	v_mul_u32_u24_e32 v6, 0x67, v1
	v_cmp_gt_u64_e32 vcc, s[10:11], v[9:10]
	v_mul_u32_u24_e32 v1, 17, v5
	v_lshlrev_b64 v[2:3], 2, v[2:3]
	v_sub_u32_e32 v0, v0, v1
	v_lshlrev_b32_e32 v22, 2, v6
	s_and_saveexec_b64 s[4:5], vcc
	s_cbranch_execz .LBB0_12
; %bb.9:
	v_mov_b32_e32 v1, 0
	v_mov_b32_e32 v5, s3
	v_add_co_u32_e64 v4, s[0:1], s2, v2
	v_lshlrev_b64 v[7:8], 2, v[0:1]
	v_addc_co_u32_e64 v5, s[0:1], v5, v3, s[0:1]
	v_add_co_u32_e64 v7, s[0:1], v4, v7
	v_addc_co_u32_e64 v8, s[0:1], v5, v8, s[0:1]
	global_load_dword v9, v[7:8], off
	global_load_dword v10, v[7:8], off offset:68
	global_load_dword v11, v[7:8], off offset:136
	;; [unrolled: 1-line block ×5, first 2 shown]
	v_lshlrev_b32_e32 v1, 2, v0
	v_add3_u32 v1, 0, v22, v1
	v_cmp_eq_u32_e64 s[0:1], 16, v0
	s_waitcnt vmcnt(4)
	ds_write2_b32 v1, v9, v10 offset1:17
	s_waitcnt vmcnt(2)
	ds_write2_b32 v1, v11, v12 offset0:34 offset1:51
	s_waitcnt vmcnt(0)
	ds_write2_b32 v1, v13, v14 offset0:68 offset1:85
	s_and_saveexec_b64 s[6:7], s[0:1]
	s_cbranch_execz .LBB0_11
; %bb.10:
	global_load_dword v0, v[4:5], off offset:408
	s_waitcnt vmcnt(0)
	ds_write_b32 v1, v0 offset:344
	v_mov_b32_e32 v0, 16
.LBB0_11:
	s_or_b64 exec, exec, s[6:7]
.LBB0_12:
	s_or_b64 exec, exec, s[4:5]
	v_lshl_add_u32 v20, v6, 2, 0
	v_lshlrev_b32_e32 v7, 2, v0
	v_add_u32_e32 v21, v20, v7
	s_waitcnt lgkmcnt(0)
	s_barrier
	v_sub_u32_e32 v6, v20, v7
	ds_read_u16 v10, v21
	ds_read_u16 v11, v6 offset:408
	v_cmp_ne_u32_e64 s[0:1], 0, v0
                                        ; implicit-def: $vgpr4_vgpr5
	s_waitcnt lgkmcnt(0)
	v_add_f16_e32 v8, v11, v10
	v_sub_f16_e32 v9, v10, v11
	s_and_saveexec_b64 s[4:5], s[0:1]
	s_xor_b64 s[4:5], exec, s[4:5]
	s_cbranch_execz .LBB0_14
; %bb.13:
	v_mov_b32_e32 v1, 0
	v_lshlrev_b64 v[4:5], 2, v[0:1]
	v_mov_b32_e32 v8, s9
	v_add_co_u32_e64 v4, s[0:1], s8, v4
	v_addc_co_u32_e64 v5, s[0:1], v8, v5, s[0:1]
	global_load_dword v4, v[4:5], off offset:340
	ds_read_u16 v5, v6 offset:410
	ds_read_u16 v8, v21 offset:2
	v_add_f16_e32 v9, v11, v10
	v_sub_f16_e32 v10, v10, v11
	s_waitcnt lgkmcnt(0)
	v_add_f16_e32 v11, v5, v8
	v_sub_f16_e32 v5, v8, v5
	s_waitcnt vmcnt(0)
	v_lshrrev_b32_e32 v8, 16, v4
	v_fma_f16 v12, v10, v8, v9
	v_fma_f16 v13, v11, v8, v5
	v_fma_f16 v14, -v10, v8, v9
	v_fma_f16 v5, v11, v8, -v5
	v_fma_f16 v8, -v4, v11, v12
	v_fma_f16 v9, v10, v4, v13
	v_fma_f16 v11, v4, v11, v14
	v_fma_f16 v4, v10, v4, v5
	v_pack_b32_f16 v4, v11, v4
	ds_write_b32 v6, v4 offset:408
	v_mov_b32_e32 v5, v1
	v_mov_b32_e32 v4, v0
.LBB0_14:
	s_andn2_saveexec_b64 s[0:1], s[4:5]
	s_cbranch_execz .LBB0_16
; %bb.15:
	ds_read_b32 v1, v20 offset:204
	s_mov_b32 s4, 0xc0004000
	v_mov_b32_e32 v4, 0
	v_mov_b32_e32 v5, 0
	s_waitcnt lgkmcnt(0)
	v_pk_mul_f16 v1, v1, s4
	ds_write_b32 v20, v1 offset:204
.LBB0_16:
	s_or_b64 exec, exec, s[0:1]
	s_add_u32 s0, s8, 0x154
	v_lshlrev_b64 v[4:5], 2, v[4:5]
	s_addc_u32 s1, s9, 0
	v_mov_b32_e32 v1, s1
	v_add_co_u32_e64 v4, s[0:1], s0, v4
	v_addc_co_u32_e64 v5, s[0:1], v1, v5, s[0:1]
	global_load_dword v1, v[4:5], off offset:68
	global_load_dword v10, v[4:5], off offset:136
	s_mov_b32 s0, 0x5040100
	v_perm_b32 v4, v9, v8, s0
	ds_write_b32 v21, v4
	ds_read_b32 v4, v21 offset:68
	ds_read_b32 v5, v6 offset:340
	v_cmp_gt_u32_e64 s[0:1], 6, v0
	s_waitcnt lgkmcnt(0)
	v_add_f16_e32 v8, v4, v5
	v_add_f16_sdwa v9, v5, v4 dst_sel:DWORD dst_unused:UNUSED_PAD src0_sel:WORD_1 src1_sel:WORD_1
	v_sub_f16_e32 v11, v4, v5
	v_sub_f16_sdwa v4, v4, v5 dst_sel:DWORD dst_unused:UNUSED_PAD src0_sel:WORD_1 src1_sel:WORD_1
	s_waitcnt vmcnt(1)
	v_lshrrev_b32_e32 v5, 16, v1
	v_fma_f16 v12, v11, v5, v8
	v_fma_f16 v13, v9, v5, v4
	v_fma_f16 v8, -v11, v5, v8
	v_fma_f16 v4, v9, v5, -v4
	v_fma_f16 v5, -v1, v9, v12
	v_fma_f16 v12, v11, v1, v13
	v_fma_f16 v8, v1, v9, v8
	;; [unrolled: 1-line block ×3, first 2 shown]
	v_pack_b32_f16 v4, v5, v12
	v_pack_b32_f16 v1, v8, v1
	ds_write_b32 v21, v4 offset:68
	ds_write_b32 v6, v1 offset:340
	ds_read_b32 v4, v21 offset:136
	ds_read_b32 v5, v6 offset:272
	v_add3_u32 v1, 0, v7, v22
	s_waitcnt vmcnt(0)
	v_lshrrev_b32_e32 v7, 16, v10
	s_waitcnt lgkmcnt(0)
	v_add_f16_e32 v8, v4, v5
	v_add_f16_sdwa v9, v5, v4 dst_sel:DWORD dst_unused:UNUSED_PAD src0_sel:WORD_1 src1_sel:WORD_1
	v_sub_f16_e32 v11, v4, v5
	v_sub_f16_sdwa v4, v4, v5 dst_sel:DWORD dst_unused:UNUSED_PAD src0_sel:WORD_1 src1_sel:WORD_1
	v_fma_f16 v5, v11, v7, v8
	v_fma_f16 v12, v9, v7, v4
	v_fma_f16 v8, -v11, v7, v8
	v_fma_f16 v4, v9, v7, -v4
	v_fma_f16 v5, -v10, v9, v5
	v_fma_f16 v7, v11, v10, v12
	v_fma_f16 v8, v10, v9, v8
	;; [unrolled: 1-line block ×3, first 2 shown]
	v_pack_b32_f16 v5, v5, v7
	v_pack_b32_f16 v4, v8, v4
	ds_write_b32 v21, v5 offset:136
	ds_write_b32 v6, v4 offset:272
	s_waitcnt lgkmcnt(0)
	s_barrier
	s_barrier
	ds_read2_b32 v[14:15], v1 offset0:6 offset1:12
	ds_read2_b32 v[10:11], v1 offset0:18 offset1:24
	ds_read_b32 v23, v21
	ds_read2_b32 v[8:9], v1 offset0:30 offset1:36
	ds_read2_b32 v[4:5], v1 offset0:42 offset1:48
	;; [unrolled: 1-line block ×6, first 2 shown]
	s_waitcnt lgkmcnt(0)
	s_barrier
	s_and_saveexec_b64 s[4:5], s[0:1]
	s_cbranch_execz .LBB0_18
; %bb.17:
	v_pk_add_f16 v24, v23, v14
	v_pk_add_f16 v24, v24, v15
	;; [unrolled: 1-line block ×14, first 2 shown]
	v_mul_u32_u24_e32 v25, 0x44, v0
	v_pk_add_f16 v24, v24, v18
	v_add3_u32 v22, 0, v25, v22
	v_pk_add_f16 v27, v24, v19
	v_pk_add_f16 v24, v14, v19 neg_lo:[0,1] neg_hi:[0,1]
	v_pk_add_f16 v25, v19, v14
	v_pk_add_f16 v14, v15, v18 neg_lo:[0,1] neg_hi:[0,1]
	;; [unrolled: 2-line block ×7, first 2 shown]
	v_pk_add_f16 v5, v6, v5
	v_lshrrev_b32_e32 v6, 16, v25
	s_movk_i32 s6, 0x39e9
	v_mul_f16_e32 v30, 0xb964, v24
	v_pk_add_f16 v13, v9, v12 neg_lo:[0,1] neg_hi:[0,1]
	v_pk_add_f16 v9, v12, v9
	v_lshrrev_b32_e32 v12, 16, v19
	s_movk_i32 s0, 0x2de8
	v_fma_f16 v28, v6, s6, v30
	v_mul_f16_e32 v31, 0xbbf7, v14
	v_lshrrev_b32_e32 v26, 16, v18
	s_mov_b32 s1, 0xb8d2
	v_add_f16_sdwa v28, v23, v28 dst_sel:DWORD dst_unused:UNUSED_PAD src0_sel:WORD_1 src1_sel:DWORD
	v_fma_f16 v29, v12, s0, v31
	v_mul_f16_e32 v32, 0xba62, v15
	v_add_f16_e32 v28, v29, v28
	v_fma_f16 v29, v26, s1, v32
	s_mov_b32 s13, 0xbbdd
	v_lshrrev_b32_e32 v33, 16, v17
	v_mul_f16_e32 v34, 0xb1e1, v10
	v_add_f16_e32 v28, v29, v28
	v_fma_f16 v29, v33, s13, v34
	s_mov_b32 s11, 0xbacd
	v_lshrrev_b32_e32 v35, 16, v16
	;; [unrolled: 5-line block ×3, first 2 shown]
	v_mul_f16_e32 v38, 0x3bb2, v13
	v_add_f16_e32 v28, v29, v28
	v_fma_f16 v29, v37, s10, v38
	s_movk_i32 s12, 0x3722
	v_lshrrev_b32_e32 v39, 16, v7
	v_mul_f16_e32 v40, 0x3b29, v8
	v_add_f16_e32 v28, v29, v28
	v_fma_f16 v29, v39, s12, v40
	s_movk_i32 s14, 0x3b76
	v_lshrrev_b32_e32 v41, 16, v5
	v_mul_f16_e32 v43, 0x35c8, v4
	v_add_f16_e32 v28, v29, v28
	v_fma_f16 v29, v41, s14, v43
	s_mov_b32 s15, 0x3b7639e9
	v_add_f16_e32 v65, v29, v28
	s_mov_b32 s7, 0xb964b5c8
	v_pk_mul_f16 v28, v25, s15
	s_mov_b32 s16, 0x39e92de8
	v_pk_fma_f16 v44, v24, s7, v28 op_sel:[0,0,1] op_sel_hi:[1,1,0]
	v_pk_fma_f16 v42, v24, s7, v28 op_sel:[0,0,1] op_sel_hi:[1,1,0] neg_lo:[1,0,0] neg_hi:[1,0,0]
	s_mov_b32 s7, 0xffff
	s_mov_b32 s15, 0xbbf7b964
	v_pk_mul_f16 v29, v19, s16
	v_bfi_b32 v28, s7, v44, v42
	v_pk_fma_f16 v46, v14, s15, v29 op_sel:[0,0,1] op_sel_hi:[1,1,0]
	v_pk_fma_f16 v45, v14, s15, v29 op_sel:[0,0,1] op_sel_hi:[1,1,0] neg_lo:[1,0,0] neg_hi:[1,0,0]
	v_pk_add_f16 v28, v23, v28 op_sel:[1,0] op_sel_hi:[0,1]
	v_bfi_b32 v29, s7, v46, v45
	s_mov_b32 s16, 0x3722b8d2
	v_pk_add_f16 v28, v29, v28
	s_mov_b32 s15, 0xba62bb29
	v_pk_mul_f16 v29, v18, s16
	v_pk_fma_f16 v48, v15, s15, v29 op_sel:[0,0,1] op_sel_hi:[1,1,0]
	v_pk_fma_f16 v47, v15, s15, v29 op_sel:[0,0,1] op_sel_hi:[1,1,0] neg_lo:[1,0,0] neg_hi:[1,0,0]
	v_bfi_b32 v29, s7, v48, v47
	s_mov_b32 s16, 0x2de8bbdd
	v_pk_add_f16 v28, v29, v28
	s_mov_b32 s15, 0xb1e1bbf7
	v_pk_mul_f16 v29, v17, s16
	v_pk_fma_f16 v50, v10, s15, v29 op_sel:[0,0,1] op_sel_hi:[1,1,0]
	v_pk_fma_f16 v49, v10, s15, v29 op_sel:[0,0,1] op_sel_hi:[1,1,0] neg_lo:[1,0,0] neg_hi:[1,0,0]
	v_bfi_b32 v29, s7, v50, v49
	s_mov_b32 s16, 0xb461bacd
	v_pk_add_f16 v28, v29, v28
	s_mov_b32 s15, 0x3836bbb2
	v_pk_mul_f16 v29, v16, s16
	v_pk_fma_f16 v52, v11, s15, v29 op_sel:[0,0,1] op_sel_hi:[1,1,0]
	v_pk_fma_f16 v51, v11, s15, v29 op_sel:[0,0,1] op_sel_hi:[1,1,0] neg_lo:[1,0,0] neg_hi:[1,0,0]
	v_bfi_b32 v29, s7, v52, v51
	s_mov_b32 s16, 0xb8d2b461
	v_pk_add_f16 v28, v29, v28
	s_mov_b32 s15, 0x3bb2ba62
	v_pk_mul_f16 v29, v9, s16
	v_pk_fma_f16 v54, v13, s15, v29 op_sel:[0,0,1] op_sel_hi:[1,1,0]
	v_pk_fma_f16 v53, v13, s15, v29 op_sel:[0,0,1] op_sel_hi:[1,1,0] neg_lo:[1,0,0] neg_hi:[1,0,0]
	s_mov_b32 s16, 0xbacd3722
	v_bfi_b32 v29, s7, v54, v53
	s_mov_b32 s15, 0x3b29b836
	v_pk_mul_f16 v55, v7, s16
	v_pk_add_f16 v29, v29, v28
	v_pk_fma_f16 v28, v8, s15, v55 op_sel:[0,0,1] op_sel_hi:[1,1,0]
	v_pk_fma_f16 v55, v8, s15, v55 op_sel:[0,0,1] op_sel_hi:[1,1,0] neg_lo:[1,0,0] neg_hi:[1,0,0]
	v_bfi_b32 v56, s7, v28, v55
	s_mov_b32 s16, 0xbbdd3b76
	v_pk_add_f16 v57, v56, v29
	s_mov_b32 s15, 0x35c8b1e1
	v_pk_mul_f16 v29, v5, s16
	v_pk_fma_f16 v58, v4, s15, v29 op_sel:[0,0,1] op_sel_hi:[1,1,0]
	v_pk_fma_f16 v56, v4, s15, v29 op_sel:[0,0,1] op_sel_hi:[1,1,0] neg_lo:[1,0,0] neg_hi:[1,0,0]
	v_bfi_b32 v58, s7, v58, v56
	s_mov_b32 s20, 0xb5c8
	v_pk_add_f16 v66, v58, v57
	v_mul_f16_sdwa v57, v24, s20 dst_sel:DWORD dst_unused:UNUSED_PAD src0_sel:WORD_1 src1_sel:DWORD
	s_mov_b32 s25, 0xb964
	v_fma_f16 v58, v25, s14, -v57
	v_add_f16_e32 v59, v23, v58
	v_mul_f16_sdwa v58, v14, s25 dst_sel:DWORD dst_unused:UNUSED_PAD src0_sel:WORD_1 src1_sel:DWORD
	v_fma_f16 v60, v19, s6, -v58
	s_mov_b32 s24, 0xbb29
	v_add_f16_e32 v60, v60, v59
	v_mul_f16_sdwa v59, v15, s24 dst_sel:DWORD dst_unused:UNUSED_PAD src0_sel:WORD_1 src1_sel:DWORD
	v_fma_f16 v61, v18, s12, -v59
	s_mov_b32 s21, 0xbbf7
	;; [unrolled: 4-line block ×6, first 2 shown]
	v_add_f16_e32 v67, v67, v64
	v_mul_f16_sdwa v64, v4, s19 dst_sel:DWORD dst_unused:UNUSED_PAD src0_sel:WORD_1 src1_sel:DWORD
	v_fma_f16 v68, v5, s13, -v64
	v_add_f16_e32 v67, v68, v67
	v_alignbit_b32 v65, v65, v66, 16
	v_pack_b32_f16 v66, v67, v66
	ds_write2_b32 v22, v66, v65 offset0:1 offset1:2
	v_mul_f16_e32 v65, 0xbbf7, v24
	v_fma_f16 v66, v6, s0, v65
	v_mul_f16_e32 v67, 0xb1e1, v14
	v_add_f16_sdwa v66, v23, v66 dst_sel:DWORD dst_unused:UNUSED_PAD src0_sel:WORD_1 src1_sel:DWORD
	v_fma_f16 v68, v12, s13, v67
	v_add_f16_e32 v66, v68, v66
	v_mul_f16_e32 v68, 0x3bb2, v15
	v_fma_f16 v69, v26, s10, v68
	v_add_f16_e32 v66, v69, v66
	v_mul_f16_e32 v69, 0x35c8, v10
	;; [unrolled: 3-line block ×6, first 2 shown]
	v_fma_f16 v74, v41, s6, v73
	v_add_f16_e32 v66, v74, v66
	v_mul_f16_sdwa v74, v24, s21 dst_sel:DWORD dst_unused:UNUSED_PAD src0_sel:WORD_1 src1_sel:DWORD
	v_fma_f16 v75, v25, s0, -v74
	v_mul_f16_sdwa v76, v14, s19 dst_sel:DWORD dst_unused:UNUSED_PAD src0_sel:WORD_1 src1_sel:DWORD
	v_add_f16_e32 v75, v23, v75
	v_fma_f16 v77, v19, s13, -v76
	s_movk_i32 s26, 0x3bb2
	v_add_f16_e32 v75, v77, v75
	v_mul_f16_sdwa v77, v15, s26 dst_sel:DWORD dst_unused:UNUSED_PAD src0_sel:WORD_1 src1_sel:DWORD
	v_fma_f16 v78, v18, s10, -v77
	s_movk_i32 s22, 0x35c8
	v_add_f16_e32 v75, v78, v75
	v_mul_f16_sdwa v78, v10, s22 dst_sel:DWORD dst_unused:UNUSED_PAD src0_sel:WORD_1 src1_sel:DWORD
	v_fma_f16 v79, v17, s14, -v78
	v_add_f16_e32 v75, v79, v75
	v_mul_f16_sdwa v79, v11, s24 dst_sel:DWORD dst_unused:UNUSED_PAD src0_sel:WORD_1 src1_sel:DWORD
	v_fma_f16 v80, v16, s12, -v79
	;; [unrolled: 3-line block ×3, first 2 shown]
	s_movk_i32 s27, 0x3a62
	v_add_f16_e32 v75, v81, v75
	v_mul_f16_sdwa v81, v8, s27 dst_sel:DWORD dst_unused:UNUSED_PAD src0_sel:WORD_1 src1_sel:DWORD
	v_fma_f16 v82, v7, s1, -v81
	s_movk_i32 s23, 0x3964
	v_add_f16_e32 v75, v82, v75
	v_mul_f16_sdwa v82, v4, s23 dst_sel:DWORD dst_unused:UNUSED_PAD src0_sel:WORD_1 src1_sel:DWORD
	v_fma_f16 v83, v5, s6, -v82
	v_add_f16_e32 v75, v83, v75
	v_mul_f16_e32 v83, 0xbb29, v24
	v_fma_f16 v84, v6, s12, v83
	v_mul_f16_e32 v85, 0xba62, v14
	v_add_f16_sdwa v84, v23, v84 dst_sel:DWORD dst_unused:UNUSED_PAD src0_sel:WORD_1 src1_sel:DWORD
	v_fma_f16 v86, v12, s1, v85
	v_add_f16_e32 v84, v86, v84
	v_mul_f16_e32 v86, 0x31e1, v15
	v_fma_f16 v87, v26, s13, v86
	v_add_f16_e32 v84, v87, v84
	v_mul_f16_e32 v87, 0x3bb2, v10
	v_fma_f16 v88, v33, s10, v87
	v_add_f16_e32 v84, v88, v84
	v_mul_f16_e32 v88, 0x3964, v11
	v_fma_f16 v89, v35, s6, v88
	v_add_f16_e32 v84, v89, v84
	v_mul_f16_e32 v89, 0xb5c8, v13
	v_fma_f16 v90, v37, s14, v89
	v_add_f16_e32 v84, v90, v84
	v_mul_f16_e32 v90, 0xbbf7, v8
	v_fma_f16 v91, v39, s0, v90
	v_add_f16_e32 v84, v91, v84
	v_mul_f16_e32 v91, 0xbacd, v41
	v_fma_f16 v92, v4, s18, v91
	v_add_f16_e32 v84, v92, v84
	v_mul_f16_sdwa v92, v24, s24 dst_sel:DWORD dst_unused:UNUSED_PAD src0_sel:WORD_1 src1_sel:DWORD
	v_fma_f16 v93, v25, s12, -v92
	v_mul_f16_sdwa v94, v14, s17 dst_sel:DWORD dst_unused:UNUSED_PAD src0_sel:WORD_1 src1_sel:DWORD
	v_add_f16_e32 v93, v23, v93
	v_fma_f16 v95, v19, s1, -v94
	s_movk_i32 s28, 0x31e1
	v_add_f16_e32 v93, v95, v93
	v_mul_f16_sdwa v95, v15, s28 dst_sel:DWORD dst_unused:UNUSED_PAD src0_sel:WORD_1 src1_sel:DWORD
	v_fma_f16 v96, v18, s13, -v95
	v_add_f16_e32 v93, v96, v93
	v_mul_f16_sdwa v96, v10, s26 dst_sel:DWORD dst_unused:UNUSED_PAD src0_sel:WORD_1 src1_sel:DWORD
	v_fma_f16 v97, v17, s10, -v96
	;; [unrolled: 3-line block ×6, first 2 shown]
	v_add_f16_e32 v93, v101, v93
	v_pack_b32_f16 v66, v75, v66
	v_pack_b32_f16 v75, v93, v84
	ds_write2_b32 v22, v75, v66 offset0:3 offset1:4
	v_mul_f16_e32 v66, 0xba62, v24
	v_fma_f16 v75, v6, s1, v66
	v_mul_f16_e32 v84, 0x3bb2, v14
	v_add_f16_sdwa v75, v23, v75 dst_sel:DWORD dst_unused:UNUSED_PAD src0_sel:WORD_1 src1_sel:DWORD
	v_fma_f16 v93, v12, s10, v84
	v_add_f16_e32 v75, v93, v75
	v_mul_f16_e32 v93, 0xb5c8, v15
	v_fma_f16 v101, v26, s14, v93
	v_add_f16_e32 v75, v101, v75
	v_mul_f16_e32 v101, 0xb836, v10
	;; [unrolled: 3-line block ×6, first 2 shown]
	v_fma_f16 v106, v41, s12, v105
	v_add_f16_e32 v75, v106, v75
	v_mul_f16_sdwa v106, v24, s17 dst_sel:DWORD dst_unused:UNUSED_PAD src0_sel:WORD_1 src1_sel:DWORD
	v_fma_f16 v107, v25, s1, -v106
	v_mul_f16_sdwa v108, v14, s26 dst_sel:DWORD dst_unused:UNUSED_PAD src0_sel:WORD_1 src1_sel:DWORD
	v_add_f16_e32 v107, v23, v107
	v_fma_f16 v109, v19, s10, -v108
	v_add_f16_e32 v107, v109, v107
	v_mul_f16_sdwa v109, v15, s20 dst_sel:DWORD dst_unused:UNUSED_PAD src0_sel:WORD_1 src1_sel:DWORD
	v_fma_f16 v110, v18, s14, -v109
	v_add_f16_e32 v107, v110, v107
	v_mul_f16_sdwa v110, v10, s18 dst_sel:DWORD dst_unused:UNUSED_PAD src0_sel:WORD_1 src1_sel:DWORD
	v_fma_f16 v111, v17, s11, -v110
	s_movk_i32 s26, 0x3bf7
	v_add_f16_e32 v107, v111, v107
	v_mul_f16_sdwa v111, v11, s26 dst_sel:DWORD dst_unused:UNUSED_PAD src0_sel:WORD_1 src1_sel:DWORD
	v_fma_f16 v112, v16, s0, -v111
	v_add_f16_e32 v107, v112, v107
	v_mul_f16_sdwa v112, v13, s25 dst_sel:DWORD dst_unused:UNUSED_PAD src0_sel:WORD_1 src1_sel:DWORD
	v_fma_f16 v113, v9, s6, -v112
	;; [unrolled: 3-line block ×3, first 2 shown]
	s_movk_i32 s25, 0x3b29
	v_add_f16_e32 v107, v114, v107
	v_mul_f16_sdwa v114, v4, s25 dst_sel:DWORD dst_unused:UNUSED_PAD src0_sel:WORD_1 src1_sel:DWORD
	v_fma_f16 v115, v5, s12, -v114
	v_add_f16_e32 v107, v115, v107
	v_mul_f16_e32 v115, 0xbbb2, v24
	v_fma_f16 v116, v6, s10, v115
	v_mul_f16_e32 v117, 0x3836, v14
	v_add_f16_sdwa v116, v23, v116 dst_sel:DWORD dst_unused:UNUSED_PAD src0_sel:WORD_1 src1_sel:DWORD
	v_fma_f16 v118, v12, s11, v117
	v_add_f16_e32 v116, v118, v116
	v_mul_f16_e32 v118, 0x3964, v15
	v_fma_f16 v119, v26, s6, v118
	v_add_f16_e32 v116, v119, v116
	v_mul_f16_e32 v119, 0xbb29, v10
	;; [unrolled: 3-line block ×6, first 2 shown]
	v_fma_f16 v124, v41, s1, v123
	v_add_f16_e32 v116, v124, v116
	s_movk_i32 s28, 0x3836
	v_mul_f16_sdwa v124, v24, s16 dst_sel:DWORD dst_unused:UNUSED_PAD src0_sel:WORD_1 src1_sel:DWORD
	v_fma_f16 v125, v25, s10, -v124
	v_mul_f16_sdwa v126, v14, s28 dst_sel:DWORD dst_unused:UNUSED_PAD src0_sel:WORD_1 src1_sel:DWORD
	v_add_f16_e32 v125, v23, v125
	v_fma_f16 v127, v19, s11, -v126
	v_add_f16_e32 v125, v127, v125
	v_mul_f16_sdwa v127, v15, s23 dst_sel:DWORD dst_unused:UNUSED_PAD src0_sel:WORD_1 src1_sel:DWORD
	v_fma_f16 v128, v18, s6, -v127
	v_add_f16_e32 v125, v128, v125
	v_mul_f16_sdwa v128, v10, s24 dst_sel:DWORD dst_unused:UNUSED_PAD src0_sel:WORD_1 src1_sel:DWORD
	;; [unrolled: 3-line block ×6, first 2 shown]
	v_fma_f16 v133, v5, s1, -v132
	v_add_f16_e32 v125, v133, v125
	v_pack_b32_f16 v75, v107, v75
	v_pack_b32_f16 v107, v125, v116
	ds_write2_b32 v22, v107, v75 offset0:5 offset1:6
	v_mul_f16_e32 v75, 0xb836, v24
	v_fma_f16 v107, v6, s11, v75
	v_mul_f16_e32 v116, 0x3b29, v14
	v_add_f16_sdwa v107, v23, v107 dst_sel:DWORD dst_unused:UNUSED_PAD src0_sel:WORD_1 src1_sel:DWORD
	v_fma_f16 v125, v12, s12, v116
	v_add_f16_e32 v107, v125, v107
	v_mul_f16_e32 v125, 0xbbf7, v15
	v_fma_f16 v133, v26, s0, v125
	v_add_f16_e32 v107, v133, v107
	v_mul_f16_e32 v133, 0x3a62, v10
	;; [unrolled: 3-line block ×6, first 2 shown]
	v_fma_f16 v138, v41, s10, v137
	v_add_f16_e32 v107, v138, v107
	v_mul_f16_sdwa v138, v24, s18 dst_sel:DWORD dst_unused:UNUSED_PAD src0_sel:WORD_1 src1_sel:DWORD
	v_fma_f16 v139, v25, s11, -v138
	v_mul_f16_sdwa v140, v14, s25 dst_sel:DWORD dst_unused:UNUSED_PAD src0_sel:WORD_1 src1_sel:DWORD
	v_fma_f16 v66, v6, s1, -v66
	v_fma_f16 v65, v6, s0, -v65
	v_add_f16_e32 v139, v23, v139
	v_fma_f16 v141, v19, s12, -v140
	v_add_f16_sdwa v66, v23, v66 dst_sel:DWORD dst_unused:UNUSED_PAD src0_sel:WORD_1 src1_sel:DWORD
	v_fma_f16 v84, v12, s10, -v84
	v_add_f16_sdwa v65, v23, v65 dst_sel:DWORD dst_unused:UNUSED_PAD src0_sel:WORD_1 src1_sel:DWORD
	v_fma_f16 v67, v12, s13, -v67
	v_add_f16_e32 v139, v141, v139
	v_mul_f16_sdwa v141, v15, s21 dst_sel:DWORD dst_unused:UNUSED_PAD src0_sel:WORD_1 src1_sel:DWORD
	v_add_f16_e32 v66, v84, v66
	v_fma_f16 v84, v26, s14, -v93
	v_add_f16_e32 v65, v67, v65
	v_fma_f16 v67, v26, s10, -v68
	v_fma_f16 v142, v18, s0, -v141
	v_add_f16_e32 v66, v84, v66
	v_fma_f16 v84, v33, s11, -v101
	v_add_f16_e32 v65, v67, v65
	v_fma_f16 v67, v33, s14, -v69
	v_add_f16_e32 v139, v142, v139
	v_mul_f16_sdwa v142, v10, s27 dst_sel:DWORD dst_unused:UNUSED_PAD src0_sel:WORD_1 src1_sel:DWORD
	v_add_f16_e32 v66, v84, v66
	v_fma_f16 v84, v35, s0, -v102
	v_add_f16_e32 v65, v67, v65
	v_fma_f16 v67, v35, s12, -v70
	v_fma_f16 v143, v17, s1, -v142
	v_add_f16_e32 v66, v84, v66
	v_fma_f16 v84, v37, s6, -v103
	v_add_f16_e32 v65, v67, v65
	;; [unrolled: 11-line block ×3, first 2 shown]
	v_fma_f16 v67, v41, s6, -v73
	v_add_f16_e32 v139, v144, v139
	v_mul_f16_sdwa v144, v13, s19 dst_sel:DWORD dst_unused:UNUSED_PAD src0_sel:WORD_1 src1_sel:DWORD
	v_add_f16_e32 v66, v84, v66
	v_fma_f16 v84, v25, s1, v106
	v_add_f16_e32 v65, v67, v65
	v_fma_f16 v67, v25, s0, v74
	v_fma_f16 v145, v9, s13, -v144
	v_add_f16_e32 v84, v23, v84
	v_fma_f16 v93, v19, s10, v108
	v_add_f16_e32 v67, v23, v67
	v_fma_f16 v68, v19, s13, v76
	v_add_f16_e32 v139, v145, v139
	v_mul_f16_sdwa v145, v8, s23 dst_sel:DWORD dst_unused:UNUSED_PAD src0_sel:WORD_1 src1_sel:DWORD
	v_add_f16_e32 v84, v93, v84
	v_fma_f16 v93, v18, s14, v109
	v_add_f16_e32 v67, v68, v67
	v_fma_f16 v68, v18, s10, v77
	v_fma_f16 v146, v7, s6, -v145
	v_add_f16_e32 v84, v93, v84
	v_fma_f16 v93, v17, s11, v110
	v_add_f16_e32 v67, v68, v67
	v_fma_f16 v68, v17, s14, v78
	;; [unrolled: 11-line block ×3, first 2 shown]
	v_add_f16_e32 v139, v147, v139
	v_add_f16_e32 v84, v93, v84
	v_fma_f16 v93, v7, s13, v113
	v_add_f16_e32 v67, v68, v67
	v_fma_f16 v68, v7, s1, v81
	v_pack_b32_f16 v107, v139, v107
	v_add_f16_e32 v84, v93, v84
	v_fma_f16 v93, v5, s12, v114
	v_add_f16_e32 v67, v68, v67
	v_fma_f16 v68, v5, s6, v82
	ds_write2_b32 v22, v27, v107 offset1:7
	v_fma_f16 v27, v6, s11, -v75
	v_add_f16_e32 v84, v93, v84
	v_fma_f16 v93, v6, s10, -v115
	v_add_f16_e32 v67, v68, v67
	v_fma_f16 v68, v6, s12, -v83
	v_fma_f16 v6, v6, s6, -v30
	v_add_f16_sdwa v27, v23, v27 dst_sel:DWORD dst_unused:UNUSED_PAD src0_sel:WORD_1 src1_sel:DWORD
	v_fma_f16 v75, v12, s12, -v116
	v_add_f16_sdwa v93, v23, v93 dst_sel:DWORD dst_unused:UNUSED_PAD src0_sel:WORD_1 src1_sel:DWORD
	v_fma_f16 v101, v12, s11, -v117
	v_fma_f16 v69, v12, s1, -v85
	;; [unrolled: 1-line block ×3, first 2 shown]
	v_add_f16_sdwa v6, v23, v6 dst_sel:DWORD dst_unused:UNUSED_PAD src0_sel:WORD_1 src1_sel:DWORD
	v_fma_f16 v31, v25, s14, v57
	v_add_f16_e32 v27, v75, v27
	v_fma_f16 v75, v26, s0, -v125
	v_add_f16_e32 v93, v101, v93
	v_fma_f16 v101, v26, s6, -v118
	v_add_f16_e32 v6, v12, v6
	v_fma_f16 v12, v26, s1, -v32
	v_add_f16_e32 v31, v23, v31
	v_fma_f16 v32, v19, s6, v58
	v_add_f16_e32 v27, v75, v27
	v_fma_f16 v75, v33, s1, -v133
	v_add_f16_e32 v93, v101, v93
	v_fma_f16 v101, v33, s12, -v119
	v_add_f16_sdwa v68, v23, v68 dst_sel:DWORD dst_unused:UNUSED_PAD src0_sel:WORD_1 src1_sel:DWORD
	v_add_f16_e32 v31, v32, v31
	v_fma_f16 v32, v18, s12, v59
	v_add_f16_e32 v27, v75, v27
	v_fma_f16 v75, v35, s14, -v134
	v_add_f16_e32 v93, v101, v93
	v_fma_f16 v101, v35, s13, -v120
	v_add_f16_e32 v68, v69, v68
	v_fma_f16 v69, v26, s13, -v86
	v_add_f16_e32 v31, v32, v31
	v_fma_f16 v32, v17, s0, v60
	v_add_f16_e32 v27, v75, v27
	v_fma_f16 v75, v37, s13, -v135
	v_add_f16_e32 v93, v101, v93
	v_fma_f16 v101, v37, s0, -v121
	v_add_f16_e32 v68, v69, v68
	v_fma_f16 v69, v33, s10, -v87
	v_add_f16_e32 v6, v12, v6
	v_fma_f16 v12, v33, s13, -v34
	v_add_f16_e32 v31, v32, v31
	v_fma_f16 v32, v16, s10, v61
	v_add_f16_e32 v27, v75, v27
	v_fma_f16 v75, v39, s6, -v136
	;; [unrolled: 10-line block ×3, first 2 shown]
	v_add_f16_e32 v93, v101, v93
	v_fma_f16 v101, v41, s1, -v123
	v_add_f16_e32 v68, v69, v68
	v_fma_f16 v69, v37, s14, -v89
	;; [unrolled: 2-line block ×3, first 2 shown]
	v_add_f16_e32 v31, v32, v31
	v_fma_f16 v32, v7, s11, v63
	v_add_f16_e32 v27, v75, v27
	v_fma_f16 v75, v25, s11, v138
	;; [unrolled: 2-line block ×4, first 2 shown]
	v_add_f16_e32 v6, v12, v6
	v_fma_f16 v26, v39, s12, -v40
	v_add_f16_e32 v31, v32, v31
	v_fma_f16 v32, v5, s13, v64
	v_pk_mul_f16 v25, v25, s13 op_sel_hi:[1,0]
	v_add_f16_e32 v75, v23, v75
	v_fma_f16 v107, v19, s12, v140
	v_add_f16_e32 v101, v23, v101
	v_fma_f16 v102, v19, s11, v126
	;; [unrolled: 2-line block ×3, first 2 shown]
	v_add_f16_e32 v6, v26, v6
	v_fma_f16 v26, v41, s14, -v43
	v_add_f16_e32 v31, v32, v31
	v_pk_fma_f16 v32, v24, s19, v25 op_sel:[0,0,1] op_sel_hi:[1,0,0] neg_lo:[1,0,0] neg_hi:[1,0,0]
	v_pk_mul_f16 v19, v19, s14 op_sel_hi:[1,0]
	v_pk_fma_f16 v24, v24, s19, v25 op_sel:[0,0,1] op_sel_hi:[1,0,0]
	v_add_f16_e32 v75, v107, v75
	v_fma_f16 v107, v18, s0, v141
	v_add_f16_e32 v101, v102, v101
	v_fma_f16 v102, v18, s6, v127
	;; [unrolled: 2-line block ×3, first 2 shown]
	v_add_f16_e32 v6, v26, v6
	v_pk_add_f16 v26, v23, v44 op_sel:[1,0] op_sel_hi:[0,1]
	v_add_f16_sdwa v30, v23, v42 dst_sel:DWORD dst_unused:UNUSED_PAD src0_sel:WORD_1 src1_sel:DWORD
	v_pk_add_f16 v32, v23, v32 op_sel:[1,0] op_sel_hi:[0,1]
	v_pk_fma_f16 v33, v14, s22, v19 op_sel:[0,0,1] op_sel_hi:[1,0,0] neg_lo:[1,0,0] neg_hi:[1,0,0]
	v_pk_mul_f16 v18, v18, s11 op_sel_hi:[1,0]
	v_pk_add_f16 v23, v23, v24 op_sel:[1,0] op_sel_hi:[0,1]
	v_pk_fma_f16 v14, v14, s22, v19 op_sel:[0,0,1] op_sel_hi:[1,0,0]
	v_add_f16_e32 v75, v107, v75
	v_fma_f16 v107, v17, s1, v142
	v_add_f16_e32 v101, v102, v101
	v_fma_f16 v102, v17, s12, v128
	v_add_f16_e32 v69, v70, v69
	v_fma_f16 v70, v17, s10, v96
	v_pk_add_f16 v32, v33, v32
	v_pk_fma_f16 v33, v15, s18, v18 op_sel:[0,0,1] op_sel_hi:[1,0,0] neg_lo:[1,0,0] neg_hi:[1,0,0]
	v_pk_mul_f16 v17, v17, s6 op_sel_hi:[1,0]
	v_pk_add_f16 v14, v14, v23
	v_pk_fma_f16 v15, v15, s18, v18 op_sel:[0,0,1] op_sel_hi:[1,0,0]
	v_add_f16_e32 v75, v107, v75
	v_fma_f16 v107, v16, s14, v143
	v_add_f16_e32 v101, v102, v101
	v_fma_f16 v102, v16, s13, v129
	v_add_f16_e32 v69, v70, v69
	v_fma_f16 v70, v16, s6, v97
	v_pk_add_f16 v32, v33, v32
	v_pk_fma_f16 v33, v10, s23, v17 op_sel:[0,0,1] op_sel_hi:[1,0,0] neg_lo:[1,0,0] neg_hi:[1,0,0]
	v_pk_mul_f16 v16, v16, s1 op_sel_hi:[1,0]
	v_pk_add_f16 v14, v15, v14
	;; [unrolled: 11-line block ×5, first 2 shown]
	v_pk_fma_f16 v7, v8, s16, v7 op_sel:[0,0,1] op_sel_hi:[1,0,0]
	v_pk_add_f16 v26, v46, v26
	v_pk_add_f16 v32, v33, v32
	v_pk_fma_f16 v33, v4, s26, v5 op_sel:[0,0,1] op_sel_hi:[1,0,0] neg_lo:[1,0,0] neg_hi:[1,0,0]
	v_mul_f16_e32 v10, 0xb836, v4
	v_pk_mul_f16 v8, v4, s15
	v_pk_add_f16 v7, v7, v9
	v_pk_fma_f16 v4, v4, s26, v5 op_sel:[0,0,1] op_sel_hi:[1,0,0]
	v_pk_add_f16 v26, v48, v26
	v_pk_add_f16 v32, v33, v32
	;; [unrolled: 1-line block ×3, first 2 shown]
	v_add_f16_e32 v75, v107, v75
	v_pk_add_f16 v26, v50, v26
	v_alignbit_b32 v5, v32, v4, 16
	v_alignbit_b32 v4, v4, v32, 16
	v_add_f16_e32 v101, v102, v101
	v_pk_add_f16 v26, v52, v26
	ds_write2_b32 v22, v4, v5 offset0:8 offset1:9
	v_pack_b32_f16 v4, v84, v66
	v_pack_b32_f16 v5, v75, v27
	v_pk_add_f16 v26, v54, v26
	v_add_f16_e32 v30, v45, v30
	ds_write2_b32 v22, v5, v4 offset0:10 offset1:11
	v_pack_b32_f16 v4, v67, v65
	v_pack_b32_f16 v5, v101, v93
	v_add_f16_e32 v30, v47, v30
	ds_write2_b32 v22, v5, v4 offset0:12 offset1:13
	v_bfi_b32 v4, s7, v10, v26
	v_fma_f16 v12, v39, s0, -v90
	v_add_f16_e32 v30, v49, v30
	v_pk_add_f16 v4, v91, v4 neg_lo:[0,1] neg_hi:[0,1]
	v_pk_add_f16 v5, v28, v26
	v_add_f16_e32 v30, v51, v30
	v_bfi_b32 v4, s7, v4, v5
	v_pack_b32_f16 v5, v12, v29
	v_bfi_b32 v7, s7, v68, v8
	v_add_f16_e32 v30, v53, v30
	v_pk_add_f16 v5, v5, v7
	v_add_f16_e32 v69, v70, v69
	v_add_f16_e32 v30, v55, v30
	v_pk_add_f16 v4, v4, v5
	v_add_f16_e32 v30, v56, v30
	v_alignbit_b32 v5, v6, v4, 16
	v_pack_b32_f16 v4, v69, v4
	ds_write2_b32 v22, v4, v5 offset0:14 offset1:15
	v_pack_b32_f16 v4, v31, v30
	ds_write_b32 v22, v4 offset:64
.LBB0_18:
	s_or_b64 exec, exec, s[4:5]
	v_mul_u32_u24_e32 v4, 5, v0
	v_lshlrev_b32_e32 v8, 2, v4
	s_waitcnt lgkmcnt(0)
	s_barrier
	global_load_dwordx4 v[4:7], v8, s[8:9]
	global_load_dword v12, v8, s[8:9] offset:16
	ds_read2_b32 v[8:9], v1 offset0:17 offset1:34
	ds_read2_b32 v[10:11], v1 offset0:51 offset1:68
	ds_read_b32 v13, v21
	ds_read_b32 v14, v1 offset:340
	s_movk_i32 s0, 0x3aee
	s_waitcnt lgkmcnt(3)
	v_lshrrev_b32_e32 v16, 16, v8
	v_lshrrev_b32_e32 v17, 16, v9
	s_waitcnt lgkmcnt(2)
	v_lshrrev_b32_e32 v18, 16, v10
	v_lshrrev_b32_e32 v19, 16, v11
	;; [unrolled: 3-line block ×3, first 2 shown]
	s_mov_b32 s1, 0xbaee
	s_waitcnt vmcnt(0)
	s_barrier
	v_mul_f16_sdwa v22, v4, v16 dst_sel:DWORD dst_unused:UNUSED_PAD src0_sel:WORD_1 src1_sel:DWORD
	v_mul_f16_sdwa v23, v4, v8 dst_sel:DWORD dst_unused:UNUSED_PAD src0_sel:WORD_1 src1_sel:DWORD
	;; [unrolled: 1-line block ×10, first 2 shown]
	v_fma_f16 v8, v4, v8, -v22
	v_fma_f16 v4, v4, v16, v23
	v_fma_f16 v9, v5, v9, -v24
	v_fma_f16 v5, v5, v17, v25
	;; [unrolled: 2-line block ×5, first 2 shown]
	v_sub_f16_e32 v18, v5, v7
	v_add_f16_e32 v19, v15, v5
	v_add_f16_e32 v5, v5, v7
	;; [unrolled: 1-line block ×3, first 2 shown]
	v_sub_f16_e32 v23, v6, v12
	v_add_f16_e32 v24, v4, v6
	v_add_f16_e32 v6, v6, v12
	;; [unrolled: 1-line block ×4, first 2 shown]
	v_sub_f16_e32 v9, v9, v11
	v_add_f16_e32 v21, v8, v10
	v_sub_f16_e32 v10, v10, v14
	v_fma_f16 v5, v5, -0.5, v15
	v_fma_f16 v8, v22, -0.5, v8
	;; [unrolled: 1-line block ×3, first 2 shown]
	v_add_f16_e32 v11, v16, v11
	v_fma_f16 v13, v17, -0.5, v13
	v_add_f16_e32 v7, v19, v7
	v_add_f16_e32 v12, v24, v12
	v_fma_f16 v15, v9, s1, v5
	v_fma_f16 v5, v9, s0, v5
	;; [unrolled: 1-line block ×4, first 2 shown]
	v_add_f16_e32 v14, v21, v14
	v_fma_f16 v6, v18, s0, v13
	v_fma_f16 v13, v18, s1, v13
	;; [unrolled: 1-line block ×4, first 2 shown]
	v_add_f16_e32 v17, v7, v12
	v_sub_f16_e32 v7, v7, v12
	v_mul_f16_e32 v12, 0x3aee, v16
	v_mul_f16_e32 v18, 0xbaee, v9
	v_add_f16_e32 v10, v11, v14
	v_sub_f16_e32 v11, v11, v14
	v_mul_f16_e32 v14, -0.5, v8
	v_mul_f16_e32 v19, -0.5, v4
	v_fma_f16 v9, v9, 0.5, v12
	v_fma_f16 v12, v16, 0.5, v18
	v_fma_f16 v4, v4, s0, v14
	v_fma_f16 v8, v8, s1, v19
	v_add_f16_e32 v14, v6, v9
	v_add_f16_e32 v18, v15, v12
	;; [unrolled: 1-line block ×4, first 2 shown]
	v_sub_f16_e32 v6, v6, v9
	v_sub_f16_e32 v4, v13, v4
	;; [unrolled: 1-line block ×4, first 2 shown]
	v_pack_b32_f16 v8, v10, v17
	v_pack_b32_f16 v10, v14, v18
	ds_write2_b32 v1, v8, v10 offset1:17
	v_pack_b32_f16 v8, v16, v19
	v_pack_b32_f16 v7, v11, v7
	;; [unrolled: 1-line block ×4, first 2 shown]
	ds_write2_b32 v1, v8, v7 offset0:34 offset1:51
	ds_write2_b32 v1, v6, v4 offset0:68 offset1:85
	s_waitcnt lgkmcnt(0)
	s_barrier
	s_and_saveexec_b64 s[0:1], vcc
	s_cbranch_execz .LBB0_20
; %bb.19:
	v_lshl_add_u32 v6, v0, 2, v20
	v_mov_b32_e32 v1, 0
	ds_read2_b32 v[4:5], v6 offset1:17
	v_mov_b32_e32 v7, s3
	v_add_co_u32_e32 v8, vcc, s2, v2
	v_addc_co_u32_e32 v7, vcc, v7, v3, vcc
	v_lshlrev_b64 v[2:3], 2, v[0:1]
	v_add_co_u32_e32 v2, vcc, v8, v2
	v_addc_co_u32_e32 v3, vcc, v7, v3, vcc
	s_waitcnt lgkmcnt(0)
	global_store_dword v[2:3], v4, off
	v_add_u32_e32 v2, 17, v0
	v_mov_b32_e32 v3, v1
	v_lshlrev_b64 v[2:3], 2, v[2:3]
	v_add_co_u32_e32 v2, vcc, v8, v2
	v_addc_co_u32_e32 v3, vcc, v7, v3, vcc
	global_store_dword v[2:3], v5, off
	v_add_u32_e32 v2, 34, v0
	v_mov_b32_e32 v3, v1
	ds_read2_b32 v[4:5], v6 offset0:34 offset1:51
	v_lshlrev_b64 v[2:3], 2, v[2:3]
	v_add_co_u32_e32 v2, vcc, v8, v2
	v_addc_co_u32_e32 v3, vcc, v7, v3, vcc
	s_waitcnt lgkmcnt(0)
	global_store_dword v[2:3], v4, off
	v_add_u32_e32 v2, 51, v0
	v_mov_b32_e32 v3, v1
	v_lshlrev_b64 v[2:3], 2, v[2:3]
	v_add_co_u32_e32 v2, vcc, v8, v2
	v_addc_co_u32_e32 v3, vcc, v7, v3, vcc
	global_store_dword v[2:3], v5, off
	v_add_u32_e32 v2, 0x44, v0
	v_mov_b32_e32 v3, v1
	v_lshlrev_b64 v[2:3], 2, v[2:3]
	ds_read2_b32 v[4:5], v6 offset0:68 offset1:85
	v_add_u32_e32 v0, 0x55, v0
	v_add_co_u32_e32 v2, vcc, v8, v2
	v_lshlrev_b64 v[0:1], 2, v[0:1]
	v_addc_co_u32_e32 v3, vcc, v7, v3, vcc
	v_add_co_u32_e32 v0, vcc, v8, v0
	v_addc_co_u32_e32 v1, vcc, v7, v1, vcc
	s_waitcnt lgkmcnt(0)
	global_store_dword v[2:3], v4, off
	global_store_dword v[0:1], v5, off
.LBB0_20:
	s_endpgm
	.section	.rodata,"a",@progbits
	.p2align	6, 0x0
	.amdhsa_kernel fft_rtc_fwd_len102_factors_17_6_wgs_119_tpt_17_halfLds_half_ip_CI_unitstride_sbrr_C2R_dirReg
		.amdhsa_group_segment_fixed_size 0
		.amdhsa_private_segment_fixed_size 0
		.amdhsa_kernarg_size 88
		.amdhsa_user_sgpr_count 6
		.amdhsa_user_sgpr_private_segment_buffer 1
		.amdhsa_user_sgpr_dispatch_ptr 0
		.amdhsa_user_sgpr_queue_ptr 0
		.amdhsa_user_sgpr_kernarg_segment_ptr 1
		.amdhsa_user_sgpr_dispatch_id 0
		.amdhsa_user_sgpr_flat_scratch_init 0
		.amdhsa_user_sgpr_private_segment_size 0
		.amdhsa_uses_dynamic_stack 0
		.amdhsa_system_sgpr_private_segment_wavefront_offset 0
		.amdhsa_system_sgpr_workgroup_id_x 1
		.amdhsa_system_sgpr_workgroup_id_y 0
		.amdhsa_system_sgpr_workgroup_id_z 0
		.amdhsa_system_sgpr_workgroup_info 0
		.amdhsa_system_vgpr_workitem_id 0
		.amdhsa_next_free_vgpr 148
		.amdhsa_next_free_sgpr 29
		.amdhsa_reserve_vcc 1
		.amdhsa_reserve_flat_scratch 0
		.amdhsa_float_round_mode_32 0
		.amdhsa_float_round_mode_16_64 0
		.amdhsa_float_denorm_mode_32 3
		.amdhsa_float_denorm_mode_16_64 3
		.amdhsa_dx10_clamp 1
		.amdhsa_ieee_mode 1
		.amdhsa_fp16_overflow 0
		.amdhsa_exception_fp_ieee_invalid_op 0
		.amdhsa_exception_fp_denorm_src 0
		.amdhsa_exception_fp_ieee_div_zero 0
		.amdhsa_exception_fp_ieee_overflow 0
		.amdhsa_exception_fp_ieee_underflow 0
		.amdhsa_exception_fp_ieee_inexact 0
		.amdhsa_exception_int_div_zero 0
	.end_amdhsa_kernel
	.text
.Lfunc_end0:
	.size	fft_rtc_fwd_len102_factors_17_6_wgs_119_tpt_17_halfLds_half_ip_CI_unitstride_sbrr_C2R_dirReg, .Lfunc_end0-fft_rtc_fwd_len102_factors_17_6_wgs_119_tpt_17_halfLds_half_ip_CI_unitstride_sbrr_C2R_dirReg
                                        ; -- End function
	.section	.AMDGPU.csdata,"",@progbits
; Kernel info:
; codeLenInByte = 7756
; NumSgprs: 33
; NumVgprs: 148
; ScratchSize: 0
; MemoryBound: 0
; FloatMode: 240
; IeeeMode: 1
; LDSByteSize: 0 bytes/workgroup (compile time only)
; SGPRBlocks: 4
; VGPRBlocks: 36
; NumSGPRsForWavesPerEU: 33
; NumVGPRsForWavesPerEU: 148
; Occupancy: 1
; WaveLimiterHint : 1
; COMPUTE_PGM_RSRC2:SCRATCH_EN: 0
; COMPUTE_PGM_RSRC2:USER_SGPR: 6
; COMPUTE_PGM_RSRC2:TRAP_HANDLER: 0
; COMPUTE_PGM_RSRC2:TGID_X_EN: 1
; COMPUTE_PGM_RSRC2:TGID_Y_EN: 0
; COMPUTE_PGM_RSRC2:TGID_Z_EN: 0
; COMPUTE_PGM_RSRC2:TIDIG_COMP_CNT: 0
	.type	__hip_cuid_f42b1b7514855c5f,@object ; @__hip_cuid_f42b1b7514855c5f
	.section	.bss,"aw",@nobits
	.globl	__hip_cuid_f42b1b7514855c5f
__hip_cuid_f42b1b7514855c5f:
	.byte	0                               ; 0x0
	.size	__hip_cuid_f42b1b7514855c5f, 1

	.ident	"AMD clang version 19.0.0git (https://github.com/RadeonOpenCompute/llvm-project roc-6.4.0 25133 c7fe45cf4b819c5991fe208aaa96edf142730f1d)"
	.section	".note.GNU-stack","",@progbits
	.addrsig
	.addrsig_sym __hip_cuid_f42b1b7514855c5f
	.amdgpu_metadata
---
amdhsa.kernels:
  - .args:
      - .actual_access:  read_only
        .address_space:  global
        .offset:         0
        .size:           8
        .value_kind:     global_buffer
      - .offset:         8
        .size:           8
        .value_kind:     by_value
      - .actual_access:  read_only
        .address_space:  global
        .offset:         16
        .size:           8
        .value_kind:     global_buffer
      - .actual_access:  read_only
        .address_space:  global
        .offset:         24
        .size:           8
        .value_kind:     global_buffer
      - .offset:         32
        .size:           8
        .value_kind:     by_value
      - .actual_access:  read_only
        .address_space:  global
        .offset:         40
        .size:           8
        .value_kind:     global_buffer
      - .actual_access:  read_only
        .address_space:  global
        .offset:         48
        .size:           8
        .value_kind:     global_buffer
      - .offset:         56
        .size:           4
        .value_kind:     by_value
      - .actual_access:  read_only
        .address_space:  global
        .offset:         64
        .size:           8
        .value_kind:     global_buffer
      - .actual_access:  read_only
        .address_space:  global
        .offset:         72
        .size:           8
        .value_kind:     global_buffer
      - .address_space:  global
        .offset:         80
        .size:           8
        .value_kind:     global_buffer
    .group_segment_fixed_size: 0
    .kernarg_segment_align: 8
    .kernarg_segment_size: 88
    .language:       OpenCL C
    .language_version:
      - 2
      - 0
    .max_flat_workgroup_size: 119
    .name:           fft_rtc_fwd_len102_factors_17_6_wgs_119_tpt_17_halfLds_half_ip_CI_unitstride_sbrr_C2R_dirReg
    .private_segment_fixed_size: 0
    .sgpr_count:     33
    .sgpr_spill_count: 0
    .symbol:         fft_rtc_fwd_len102_factors_17_6_wgs_119_tpt_17_halfLds_half_ip_CI_unitstride_sbrr_C2R_dirReg.kd
    .uniform_work_group_size: 1
    .uses_dynamic_stack: false
    .vgpr_count:     148
    .vgpr_spill_count: 0
    .wavefront_size: 64
amdhsa.target:   amdgcn-amd-amdhsa--gfx906
amdhsa.version:
  - 1
  - 2
...

	.end_amdgpu_metadata
